;; amdgpu-corpus repo=ROCm/rocFFT kind=compiled arch=gfx1100 opt=O3
	.text
	.amdgcn_target "amdgcn-amd-amdhsa--gfx1100"
	.amdhsa_code_object_version 6
	.protected	fft_rtc_back_len540_factors_3_10_6_3_wgs_216_tpt_54_halfLds_half_ip_CI_unitstride_sbrr_R2C_dirReg ; -- Begin function fft_rtc_back_len540_factors_3_10_6_3_wgs_216_tpt_54_halfLds_half_ip_CI_unitstride_sbrr_R2C_dirReg
	.globl	fft_rtc_back_len540_factors_3_10_6_3_wgs_216_tpt_54_halfLds_half_ip_CI_unitstride_sbrr_R2C_dirReg
	.p2align	8
	.type	fft_rtc_back_len540_factors_3_10_6_3_wgs_216_tpt_54_halfLds_half_ip_CI_unitstride_sbrr_R2C_dirReg,@function
fft_rtc_back_len540_factors_3_10_6_3_wgs_216_tpt_54_halfLds_half_ip_CI_unitstride_sbrr_R2C_dirReg: ; @fft_rtc_back_len540_factors_3_10_6_3_wgs_216_tpt_54_halfLds_half_ip_CI_unitstride_sbrr_R2C_dirReg
; %bb.0:
	s_clause 0x2
	s_load_b128 s[4:7], s[0:1], 0x0
	s_load_b64 s[8:9], s[0:1], 0x50
	s_load_b64 s[10:11], s[0:1], 0x18
	v_mul_u32_u24_e32 v1, 0x4be, v0
	v_mov_b32_e32 v3, 0
	v_mov_b32_e32 v4, 0
	s_delay_alu instid0(VALU_DEP_3) | instskip(SKIP_1) | instid1(VALU_DEP_2)
	v_lshrrev_b32_e32 v7, 16, v1
	v_mov_b32_e32 v1, 0
	v_lshl_add_u32 v5, s15, 2, v7
	s_delay_alu instid0(VALU_DEP_2) | instskip(SKIP_2) | instid1(VALU_DEP_1)
	v_mov_b32_e32 v6, v1
	s_waitcnt lgkmcnt(0)
	v_cmp_lt_u64_e64 s2, s[6:7], 2
	s_and_b32 vcc_lo, exec_lo, s2
	s_cbranch_vccnz .LBB0_8
; %bb.1:
	s_load_b64 s[2:3], s[0:1], 0x10
	v_mov_b32_e32 v3, 0
	s_add_u32 s12, s10, 8
	v_mov_b32_e32 v4, 0
	s_addc_u32 s13, s11, 0
	s_mov_b64 s[16:17], 1
	s_waitcnt lgkmcnt(0)
	s_add_u32 s14, s2, 8
	s_addc_u32 s15, s3, 0
.LBB0_2:                                ; =>This Inner Loop Header: Depth=1
	s_load_b64 s[18:19], s[14:15], 0x0
                                        ; implicit-def: $vgpr9_vgpr10
	s_mov_b32 s2, exec_lo
	s_waitcnt lgkmcnt(0)
	v_or_b32_e32 v2, s19, v6
	s_delay_alu instid0(VALU_DEP_1)
	v_cmpx_ne_u64_e32 0, v[1:2]
	s_xor_b32 s3, exec_lo, s2
	s_cbranch_execz .LBB0_4
; %bb.3:                                ;   in Loop: Header=BB0_2 Depth=1
	v_cvt_f32_u32_e32 v2, s18
	v_cvt_f32_u32_e32 v8, s19
	s_sub_u32 s2, 0, s18
	s_subb_u32 s20, 0, s19
	s_delay_alu instid0(VALU_DEP_1) | instskip(NEXT) | instid1(VALU_DEP_1)
	v_fmac_f32_e32 v2, 0x4f800000, v8
	v_rcp_f32_e32 v2, v2
	s_waitcnt_depctr 0xfff
	v_mul_f32_e32 v2, 0x5f7ffffc, v2
	s_delay_alu instid0(VALU_DEP_1) | instskip(NEXT) | instid1(VALU_DEP_1)
	v_mul_f32_e32 v8, 0x2f800000, v2
	v_trunc_f32_e32 v8, v8
	s_delay_alu instid0(VALU_DEP_1) | instskip(SKIP_1) | instid1(VALU_DEP_2)
	v_fmac_f32_e32 v2, 0xcf800000, v8
	v_cvt_u32_f32_e32 v8, v8
	v_cvt_u32_f32_e32 v2, v2
	s_delay_alu instid0(VALU_DEP_2) | instskip(NEXT) | instid1(VALU_DEP_2)
	v_mul_lo_u32 v9, s2, v8
	v_mul_hi_u32 v10, s2, v2
	v_mul_lo_u32 v11, s20, v2
	s_delay_alu instid0(VALU_DEP_2) | instskip(SKIP_1) | instid1(VALU_DEP_2)
	v_add_nc_u32_e32 v9, v10, v9
	v_mul_lo_u32 v10, s2, v2
	v_add_nc_u32_e32 v9, v9, v11
	s_delay_alu instid0(VALU_DEP_2) | instskip(NEXT) | instid1(VALU_DEP_2)
	v_mul_hi_u32 v11, v2, v10
	v_mul_lo_u32 v12, v2, v9
	v_mul_hi_u32 v13, v2, v9
	v_mul_hi_u32 v14, v8, v10
	v_mul_lo_u32 v10, v8, v10
	v_mul_hi_u32 v15, v8, v9
	v_mul_lo_u32 v9, v8, v9
	v_add_co_u32 v11, vcc_lo, v11, v12
	v_add_co_ci_u32_e32 v12, vcc_lo, 0, v13, vcc_lo
	s_delay_alu instid0(VALU_DEP_2) | instskip(NEXT) | instid1(VALU_DEP_2)
	v_add_co_u32 v10, vcc_lo, v11, v10
	v_add_co_ci_u32_e32 v10, vcc_lo, v12, v14, vcc_lo
	v_add_co_ci_u32_e32 v11, vcc_lo, 0, v15, vcc_lo
	s_delay_alu instid0(VALU_DEP_2) | instskip(NEXT) | instid1(VALU_DEP_2)
	v_add_co_u32 v9, vcc_lo, v10, v9
	v_add_co_ci_u32_e32 v10, vcc_lo, 0, v11, vcc_lo
	s_delay_alu instid0(VALU_DEP_2) | instskip(NEXT) | instid1(VALU_DEP_2)
	v_add_co_u32 v2, vcc_lo, v2, v9
	v_add_co_ci_u32_e32 v8, vcc_lo, v8, v10, vcc_lo
	s_delay_alu instid0(VALU_DEP_2) | instskip(SKIP_1) | instid1(VALU_DEP_3)
	v_mul_hi_u32 v9, s2, v2
	v_mul_lo_u32 v11, s20, v2
	v_mul_lo_u32 v10, s2, v8
	s_delay_alu instid0(VALU_DEP_1) | instskip(SKIP_1) | instid1(VALU_DEP_2)
	v_add_nc_u32_e32 v9, v9, v10
	v_mul_lo_u32 v10, s2, v2
	v_add_nc_u32_e32 v9, v9, v11
	s_delay_alu instid0(VALU_DEP_2) | instskip(NEXT) | instid1(VALU_DEP_2)
	v_mul_hi_u32 v11, v2, v10
	v_mul_lo_u32 v12, v2, v9
	v_mul_hi_u32 v13, v2, v9
	v_mul_hi_u32 v14, v8, v10
	v_mul_lo_u32 v10, v8, v10
	v_mul_hi_u32 v15, v8, v9
	v_mul_lo_u32 v9, v8, v9
	v_add_co_u32 v11, vcc_lo, v11, v12
	v_add_co_ci_u32_e32 v12, vcc_lo, 0, v13, vcc_lo
	s_delay_alu instid0(VALU_DEP_2) | instskip(NEXT) | instid1(VALU_DEP_2)
	v_add_co_u32 v10, vcc_lo, v11, v10
	v_add_co_ci_u32_e32 v10, vcc_lo, v12, v14, vcc_lo
	v_add_co_ci_u32_e32 v11, vcc_lo, 0, v15, vcc_lo
	s_delay_alu instid0(VALU_DEP_2) | instskip(NEXT) | instid1(VALU_DEP_2)
	v_add_co_u32 v9, vcc_lo, v10, v9
	v_add_co_ci_u32_e32 v10, vcc_lo, 0, v11, vcc_lo
	s_delay_alu instid0(VALU_DEP_2) | instskip(NEXT) | instid1(VALU_DEP_2)
	v_add_co_u32 v2, vcc_lo, v2, v9
	v_add_co_ci_u32_e32 v14, vcc_lo, v8, v10, vcc_lo
	s_delay_alu instid0(VALU_DEP_2) | instskip(SKIP_1) | instid1(VALU_DEP_3)
	v_mul_hi_u32 v15, v5, v2
	v_mad_u64_u32 v[10:11], null, v6, v2, 0
	v_mad_u64_u32 v[8:9], null, v5, v14, 0
	;; [unrolled: 1-line block ×3, first 2 shown]
	s_delay_alu instid0(VALU_DEP_2) | instskip(NEXT) | instid1(VALU_DEP_3)
	v_add_co_u32 v2, vcc_lo, v15, v8
	v_add_co_ci_u32_e32 v8, vcc_lo, 0, v9, vcc_lo
	s_delay_alu instid0(VALU_DEP_2) | instskip(NEXT) | instid1(VALU_DEP_2)
	v_add_co_u32 v2, vcc_lo, v2, v10
	v_add_co_ci_u32_e32 v2, vcc_lo, v8, v11, vcc_lo
	v_add_co_ci_u32_e32 v8, vcc_lo, 0, v13, vcc_lo
	s_delay_alu instid0(VALU_DEP_2) | instskip(NEXT) | instid1(VALU_DEP_2)
	v_add_co_u32 v2, vcc_lo, v2, v12
	v_add_co_ci_u32_e32 v10, vcc_lo, 0, v8, vcc_lo
	s_delay_alu instid0(VALU_DEP_2) | instskip(SKIP_1) | instid1(VALU_DEP_3)
	v_mul_lo_u32 v11, s19, v2
	v_mad_u64_u32 v[8:9], null, s18, v2, 0
	v_mul_lo_u32 v12, s18, v10
	s_delay_alu instid0(VALU_DEP_2) | instskip(NEXT) | instid1(VALU_DEP_2)
	v_sub_co_u32 v8, vcc_lo, v5, v8
	v_add3_u32 v9, v9, v12, v11
	s_delay_alu instid0(VALU_DEP_1) | instskip(NEXT) | instid1(VALU_DEP_1)
	v_sub_nc_u32_e32 v11, v6, v9
	v_subrev_co_ci_u32_e64 v11, s2, s19, v11, vcc_lo
	v_add_co_u32 v12, s2, v2, 2
	s_delay_alu instid0(VALU_DEP_1) | instskip(SKIP_3) | instid1(VALU_DEP_3)
	v_add_co_ci_u32_e64 v13, s2, 0, v10, s2
	v_sub_co_u32 v14, s2, v8, s18
	v_sub_co_ci_u32_e32 v9, vcc_lo, v6, v9, vcc_lo
	v_subrev_co_ci_u32_e64 v11, s2, 0, v11, s2
	v_cmp_le_u32_e32 vcc_lo, s18, v14
	s_delay_alu instid0(VALU_DEP_3) | instskip(SKIP_1) | instid1(VALU_DEP_4)
	v_cmp_eq_u32_e64 s2, s19, v9
	v_cndmask_b32_e64 v14, 0, -1, vcc_lo
	v_cmp_le_u32_e32 vcc_lo, s19, v11
	v_cndmask_b32_e64 v15, 0, -1, vcc_lo
	v_cmp_le_u32_e32 vcc_lo, s18, v8
	;; [unrolled: 2-line block ×3, first 2 shown]
	v_cndmask_b32_e64 v16, 0, -1, vcc_lo
	v_cmp_eq_u32_e32 vcc_lo, s19, v11
	s_delay_alu instid0(VALU_DEP_2) | instskip(SKIP_3) | instid1(VALU_DEP_3)
	v_cndmask_b32_e64 v8, v16, v8, s2
	v_cndmask_b32_e32 v11, v15, v14, vcc_lo
	v_add_co_u32 v14, vcc_lo, v2, 1
	v_add_co_ci_u32_e32 v15, vcc_lo, 0, v10, vcc_lo
	v_cmp_ne_u32_e32 vcc_lo, 0, v11
	s_delay_alu instid0(VALU_DEP_2) | instskip(NEXT) | instid1(VALU_DEP_4)
	v_cndmask_b32_e32 v9, v15, v13, vcc_lo
	v_cndmask_b32_e32 v11, v14, v12, vcc_lo
	v_cmp_ne_u32_e32 vcc_lo, 0, v8
	s_delay_alu instid0(VALU_DEP_3) | instskip(NEXT) | instid1(VALU_DEP_3)
	v_cndmask_b32_e32 v10, v10, v9, vcc_lo
	v_cndmask_b32_e32 v9, v2, v11, vcc_lo
.LBB0_4:                                ;   in Loop: Header=BB0_2 Depth=1
	s_and_not1_saveexec_b32 s2, s3
	s_cbranch_execz .LBB0_6
; %bb.5:                                ;   in Loop: Header=BB0_2 Depth=1
	v_cvt_f32_u32_e32 v2, s18
	s_sub_i32 s3, 0, s18
	s_delay_alu instid0(VALU_DEP_1) | instskip(SKIP_2) | instid1(VALU_DEP_1)
	v_rcp_iflag_f32_e32 v2, v2
	s_waitcnt_depctr 0xfff
	v_mul_f32_e32 v2, 0x4f7ffffe, v2
	v_cvt_u32_f32_e32 v2, v2
	s_delay_alu instid0(VALU_DEP_1) | instskip(NEXT) | instid1(VALU_DEP_1)
	v_mul_lo_u32 v8, s3, v2
	v_mul_hi_u32 v8, v2, v8
	s_delay_alu instid0(VALU_DEP_1) | instskip(NEXT) | instid1(VALU_DEP_1)
	v_add_nc_u32_e32 v2, v2, v8
	v_mul_hi_u32 v2, v5, v2
	s_delay_alu instid0(VALU_DEP_1) | instskip(SKIP_1) | instid1(VALU_DEP_2)
	v_mul_lo_u32 v8, v2, s18
	v_add_nc_u32_e32 v9, 1, v2
	v_sub_nc_u32_e32 v8, v5, v8
	s_delay_alu instid0(VALU_DEP_1) | instskip(SKIP_1) | instid1(VALU_DEP_2)
	v_subrev_nc_u32_e32 v10, s18, v8
	v_cmp_le_u32_e32 vcc_lo, s18, v8
	v_cndmask_b32_e32 v8, v8, v10, vcc_lo
	v_mov_b32_e32 v10, v1
	v_cndmask_b32_e32 v2, v2, v9, vcc_lo
	s_delay_alu instid0(VALU_DEP_3) | instskip(NEXT) | instid1(VALU_DEP_2)
	v_cmp_le_u32_e32 vcc_lo, s18, v8
	v_add_nc_u32_e32 v9, 1, v2
	s_delay_alu instid0(VALU_DEP_1)
	v_cndmask_b32_e32 v9, v2, v9, vcc_lo
.LBB0_6:                                ;   in Loop: Header=BB0_2 Depth=1
	s_or_b32 exec_lo, exec_lo, s2
	s_load_b64 s[2:3], s[12:13], 0x0
	v_mul_lo_u32 v2, v10, s18
	s_delay_alu instid0(VALU_DEP_2)
	v_mul_lo_u32 v8, v9, s19
	v_mad_u64_u32 v[11:12], null, v9, s18, 0
	s_add_u32 s16, s16, 1
	s_addc_u32 s17, s17, 0
	s_add_u32 s12, s12, 8
	s_addc_u32 s13, s13, 0
	;; [unrolled: 2-line block ×3, first 2 shown]
	s_delay_alu instid0(VALU_DEP_1) | instskip(SKIP_1) | instid1(VALU_DEP_2)
	v_add3_u32 v2, v12, v8, v2
	v_sub_co_u32 v8, vcc_lo, v5, v11
	v_sub_co_ci_u32_e32 v2, vcc_lo, v6, v2, vcc_lo
	s_waitcnt lgkmcnt(0)
	s_delay_alu instid0(VALU_DEP_2) | instskip(NEXT) | instid1(VALU_DEP_2)
	v_mul_lo_u32 v11, s3, v8
	v_mul_lo_u32 v2, s2, v2
	v_mad_u64_u32 v[5:6], null, s2, v8, v[3:4]
	v_cmp_ge_u64_e64 s2, s[16:17], s[6:7]
	s_delay_alu instid0(VALU_DEP_1) | instskip(NEXT) | instid1(VALU_DEP_2)
	s_and_b32 vcc_lo, exec_lo, s2
	v_add3_u32 v4, v11, v6, v2
	s_delay_alu instid0(VALU_DEP_3)
	v_mov_b32_e32 v3, v5
	s_cbranch_vccnz .LBB0_9
; %bb.7:                                ;   in Loop: Header=BB0_2 Depth=1
	v_dual_mov_b32 v5, v9 :: v_dual_mov_b32 v6, v10
	s_branch .LBB0_2
.LBB0_8:
	v_dual_mov_b32 v10, v6 :: v_dual_mov_b32 v9, v5
.LBB0_9:
	s_lshl_b64 s[2:3], s[6:7], 3
	v_mul_hi_u32 v1, 0x4bda130, v0
	s_add_u32 s2, s10, s2
	s_addc_u32 s3, s11, s3
	s_load_b64 s[0:1], s[0:1], 0x20
	s_load_b64 s[2:3], s[2:3], 0x0
	s_delay_alu instid0(VALU_DEP_1) | instskip(NEXT) | instid1(VALU_DEP_1)
	v_mul_u32_u24_e32 v1, 54, v1
	v_sub_nc_u32_e32 v0, v0, v1
	s_delay_alu instid0(VALU_DEP_1)
	v_add_nc_u32_e32 v8, 54, v0
	v_add_nc_u32_e32 v6, 0x6c, v0
	s_waitcnt lgkmcnt(0)
	v_cmp_gt_u64_e32 vcc_lo, s[0:1], v[9:10]
	v_mul_lo_u32 v5, s2, v10
	v_mul_lo_u32 v11, s3, v9
	v_mad_u64_u32 v[1:2], null, s2, v9, v[3:4]
	v_cmp_le_u64_e64 s0, s[0:1], v[9:10]
	v_and_b32_e32 v3, 3, v7
	v_add_nc_u32_e32 v4, 0xa2, v0
	s_delay_alu instid0(VALU_DEP_4) | instskip(NEXT) | instid1(VALU_DEP_4)
	v_add3_u32 v2, v11, v2, v5
	s_and_saveexec_b32 s1, s0
	s_delay_alu instid0(SALU_CYCLE_1)
	s_xor_b32 s0, exec_lo, s1
; %bb.10:
	v_add_nc_u32_e32 v8, 54, v0
	v_add_nc_u32_e32 v6, 0x6c, v0
	;; [unrolled: 1-line block ×3, first 2 shown]
; %bb.11:
	s_or_saveexec_b32 s1, s0
	v_mul_u32_u24_e32 v5, 0x21d, v3
	v_lshlrev_b64 v[2:3], 2, v[1:2]
	s_delay_alu instid0(VALU_DEP_2)
	v_lshlrev_b32_e32 v17, 2, v5
	v_lshlrev_b32_e32 v5, 2, v0
	s_xor_b32 exec_lo, exec_lo, s1
	s_cbranch_execz .LBB0_13
; %bb.12:
	v_mov_b32_e32 v1, 0
	s_delay_alu instid0(VALU_DEP_1) | instskip(SKIP_1) | instid1(VALU_DEP_1)
	v_lshlrev_b64 v[9:10], 2, v[0:1]
	v_add_co_u32 v1, s0, s8, v2
	v_add_co_ci_u32_e64 v7, s0, s9, v3, s0
	s_delay_alu instid0(VALU_DEP_2) | instskip(NEXT) | instid1(VALU_DEP_1)
	v_add_co_u32 v9, s0, v1, v9
	v_add_co_ci_u32_e64 v10, s0, v7, v10, s0
	s_clause 0x9
	global_load_b32 v1, v[9:10], off
	global_load_b32 v7, v[9:10], off offset:216
	global_load_b32 v11, v[9:10], off offset:432
	;; [unrolled: 1-line block ×9, first 2 shown]
	v_add3_u32 v10, 0, v17, v5
	s_delay_alu instid0(VALU_DEP_1)
	v_add_nc_u32_e32 v20, 0x400, v10
	v_add_nc_u32_e32 v19, 0x200, v10
	s_waitcnt vmcnt(8)
	ds_store_2addr_b32 v10, v1, v7 offset1:54
	s_waitcnt vmcnt(6)
	ds_store_2addr_b32 v10, v11, v12 offset0:108 offset1:162
	s_waitcnt vmcnt(4)
	ds_store_2addr_b32 v19, v13, v14 offset0:88 offset1:142
	;; [unrolled: 2-line block ×4, first 2 shown]
.LBB0_13:
	s_or_b32 exec_lo, exec_lo, s1
	s_delay_alu instid0(VALU_DEP_1)
	v_add3_u32 v1, 0, v5, v17
	v_add_nc_u32_e32 v20, 0, v17
	s_waitcnt lgkmcnt(0)
	s_barrier
	buffer_gl0_inv
	v_add_nc_u32_e32 v13, 0x400, v1
	v_add_nc_u32_e32 v7, 0x200, v1
	;; [unrolled: 1-line block ×3, first 2 shown]
	v_mad_i32_i24 v14, v8, 12, 0
	v_lshl_add_u32 v27, v0, 3, v1
	ds_load_2addr_b32 v[9:10], v13 offset0:86 offset1:104
	ds_load_b32 v16, v1 offset:2088
	ds_load_2addr_b32 v[21:22], v1 offset0:54 offset1:108
	ds_load_2addr_b32 v[23:24], v7 offset0:106 offset1:160
	;; [unrolled: 1-line block ×3, first 2 shown]
	ds_load_b32 v18, v19
	ds_load_2addr_b32 v[25:26], v13 offset0:158 offset1:212
	v_mad_i32_i24 v15, v6, 12, 0
	s_waitcnt lgkmcnt(0)
	v_add_nc_u32_e32 v28, v14, v17
	s_barrier
	buffer_gl0_inv
	v_cmp_gt_u32_e64 s0, 18, v0
	v_add_nc_u32_e32 v29, v15, v17
	v_pk_add_f16 v30, v9, v16
	v_pk_add_f16 v31, v9, v16 neg_lo:[0,1] neg_hi:[0,1]
	v_pk_add_f16 v33, v21, v23
	v_pk_add_f16 v35, v12, v10
	;; [unrolled: 1-line block ×3, first 2 shown]
	v_pk_add_f16 v12, v12, v10 neg_lo:[0,1] neg_hi:[0,1]
	v_pk_add_f16 v36, v23, v25
	v_pk_add_f16 v37, v23, v25 neg_lo:[0,1] neg_hi:[0,1]
	v_pk_fma_f16 v23, v30, 0.5, v11 op_sel_hi:[1,0,1] neg_lo:[1,0,0] neg_hi:[1,0,0]
	v_pk_fma_f16 v30, v35, 0.5, v18 op_sel_hi:[1,0,1] neg_lo:[1,0,0] neg_hi:[1,0,0]
	v_pk_mul_f16 v12, 0x3aee, v12 op_sel_hi:[0,1]
	v_pk_add_f16 v32, v22, v24
	v_pk_add_f16 v38, v24, v26
	v_pk_add_f16 v24, v24, v26 neg_lo:[0,1] neg_hi:[0,1]
	v_pk_fma_f16 v18, 0x3aee, v31, v23 op_sel:[0,0,1] op_sel_hi:[0,1,0] neg_lo:[0,1,0] neg_hi:[0,1,0]
	v_pk_fma_f16 v21, v36, 0.5, v21 op_sel_hi:[1,0,1] neg_lo:[1,0,0] neg_hi:[1,0,0]
	v_pk_fma_f16 v23, 0x3aee, v31, v23 op_sel:[0,0,1] op_sel_hi:[0,1,0]
	v_pk_add_f16 v31, v30, v12 op_sel:[0,1] op_sel_hi:[1,0] neg_lo:[0,1] neg_hi:[0,1]
	v_pk_add_f16 v12, v30, v12 op_sel:[0,1] op_sel_hi:[1,0]
	v_pk_mul_f16 v30, 0x3aee, v37 op_sel_hi:[0,1]
	v_pk_fma_f16 v22, v38, 0.5, v22 op_sel_hi:[1,0,1] neg_lo:[1,0,0] neg_hi:[1,0,0]
	v_pk_mul_f16 v24, 0x3aee, v24 op_sel_hi:[0,1]
	v_pk_add_f16 v26, v32, v26
	v_pk_add_f16 v25, v33, v25
	;; [unrolled: 1-line block ×3, first 2 shown]
	v_bfi_b32 v33, 0xffff, v31, v12
	v_bfi_b32 v12, 0xffff, v12, v31
	v_pk_add_f16 v31, v21, v30 op_sel:[0,1] op_sel_hi:[1,0] neg_lo:[0,1] neg_hi:[0,1]
	v_pk_add_f16 v21, v21, v30 op_sel:[0,1] op_sel_hi:[1,0]
	v_pk_add_f16 v30, v22, v24 op_sel:[0,1] op_sel_hi:[1,0] neg_lo:[0,1] neg_hi:[0,1]
	v_pk_add_f16 v22, v22, v24 op_sel:[0,1] op_sel_hi:[1,0]
	v_lshrrev_b32_e32 v10, 16, v18
	ds_store_2addr_b32 v27, v32, v33 offset1:1
	ds_store_b32 v27, v12 offset:8
	v_bfi_b32 v12, 0xffff, v31, v21
	v_bfi_b32 v21, 0xffff, v21, v31
	;; [unrolled: 1-line block ×4, first 2 shown]
	ds_store_2addr_b32 v28, v25, v12 offset1:1
	ds_store_b32 v28, v21 offset:8
	ds_store_2addr_b32 v29, v26, v24 offset1:1
	ds_store_b32 v29, v22 offset:8
	s_and_saveexec_b32 s1, s0
	s_cbranch_execz .LBB0_15
; %bb.14:
	v_mul_i32_i24_e32 v12, 12, v4
	v_pk_add_f16 v9, v11, v9
	v_perm_b32 v11, v23, v10, 0x5040100
	s_delay_alu instid0(VALU_DEP_3) | instskip(NEXT) | instid1(VALU_DEP_3)
	v_add3_u32 v12, 0, v12, v17
	v_pk_add_f16 v9, v9, v16
	v_alignbit_b32 v16, v18, v23, 16
	ds_store_b32 v12, v9
	ds_store_2addr_b32 v12, v11, v16 offset0:1 offset1:2
.LBB0_15:
	s_or_b32 exec_lo, exec_lo, s1
	v_and_b32_e32 v9, 0xff, v0
	s_waitcnt lgkmcnt(0)
	s_barrier
	buffer_gl0_inv
	v_lshlrev_b32_e32 v12, 3, v6
	v_mul_lo_u16 v9, 0xab, v9
	v_lshlrev_b32_e32 v22, 2, v4
	v_cmp_gt_u32_e64 s1, 36, v0
	s_delay_alu instid0(VALU_DEP_4) | instskip(NEXT) | instid1(VALU_DEP_4)
	v_sub_nc_u32_e32 v35, v15, v12
	v_lshrrev_b16 v9, 9, v9
	s_delay_alu instid0(VALU_DEP_4) | instskip(NEXT) | instid1(VALU_DEP_2)
	v_add3_u32 v22, 0, v22, v17
	v_mul_lo_u16 v11, v9, 3
	v_and_b32_e32 v9, 0xffff, v9
	s_delay_alu instid0(VALU_DEP_2) | instskip(NEXT) | instid1(VALU_DEP_2)
	v_sub_nc_u16 v11, v0, v11
	v_mad_u32_u24 v9, 0x78, v9, 0
	s_delay_alu instid0(VALU_DEP_2) | instskip(NEXT) | instid1(VALU_DEP_1)
	v_and_b32_e32 v16, 0xff, v11
	v_mul_u32_u24_e32 v11, 9, v16
	v_lshlrev_b32_e32 v16, 2, v16
	s_delay_alu instid0(VALU_DEP_2) | instskip(NEXT) | instid1(VALU_DEP_2)
	v_lshlrev_b32_e32 v11, 2, v11
	v_add3_u32 v16, v9, v16, v17
	s_clause 0x2
	global_load_b128 v[24:27], v11, s[4:5]
	global_load_b128 v[28:31], v11, s[4:5] offset:16
	global_load_b32 v34, v11, s[4:5] offset:32
	v_lshlrev_b32_e32 v11, 3, v8
	s_delay_alu instid0(VALU_DEP_1)
	v_sub_nc_u32_e32 v21, v14, v11
	ds_load_b32 v36, v19
	ds_load_2addr_b32 v[11:12], v13 offset0:68 offset1:122
	ds_load_2addr_b32 v[14:15], v7 offset0:88 offset1:142
	;; [unrolled: 1-line block ×3, first 2 shown]
	v_add_nc_u32_e32 v7, v35, v17
	v_add_nc_u32_e32 v21, v21, v17
	ds_load_b32 v35, v21
	ds_load_b32 v37, v7
	;; [unrolled: 1-line block ×3, first 2 shown]
	s_waitcnt vmcnt(0) lgkmcnt(0)
	s_barrier
	buffer_gl0_inv
	v_lshrrev_b32_e32 v39, 16, v36
	v_lshrrev_b32_e32 v40, 16, v11
	v_lshrrev_b32_e32 v41, 16, v12
	v_lshrrev_b32_e32 v42, 16, v32
	v_lshrrev_b32_e32 v44, 16, v14
	v_lshrrev_b32_e32 v45, 16, v15
	v_lshrrev_b32_e32 v43, 16, v33
	v_lshrrev_b32_e32 v46, 16, v35
	v_lshrrev_b32_e32 v47, 16, v37
	v_lshrrev_b32_e32 v48, 16, v38
	v_lshrrev_b32_e32 v9, 16, v24
	v_lshrrev_b32_e32 v49, 16, v25
	v_lshrrev_b32_e32 v50, 16, v26
	v_lshrrev_b32_e32 v51, 16, v27
	v_lshrrev_b32_e32 v52, 16, v28
	v_lshrrev_b32_e32 v53, 16, v29
	v_lshrrev_b32_e32 v54, 16, v30
	v_lshrrev_b32_e32 v55, 16, v31
	v_lshrrev_b32_e32 v56, 16, v34
	v_mul_f16_e32 v57, v9, v46
	v_mul_f16_e32 v9, v9, v35
	;; [unrolled: 1-line block ×18, first 2 shown]
	v_fmac_f16_e32 v57, v24, v35
	v_fma_f16 v9, v24, v46, -v9
	v_fmac_f16_e32 v58, v25, v37
	v_fma_f16 v24, v25, v47, -v49
	;; [unrolled: 2-line block ×8, first 2 shown]
	v_fma_f16 v27, v43, v34, -v56
	v_fmac_f16_e32 v65, v33, v34
	v_add_f16_e32 v28, v36, v58
	v_sub_f16_e32 v32, v58, v60
	v_sub_f16_e32 v33, v64, v62
	v_add_f16_e32 v34, v58, v64
	v_sub_f16_e32 v35, v60, v58
	v_sub_f16_e32 v37, v62, v64
	;; [unrolled: 1-line block ×5, first 2 shown]
	v_add_f16_e32 v56, v9, v25
	v_add_f16_e32 v58, v15, v12
	;; [unrolled: 1-line block ×6, first 2 shown]
	v_sub_f16_e32 v49, v25, v27
	v_sub_f16_e32 v50, v15, v12
	;; [unrolled: 1-line block ×3, first 2 shown]
	v_add_f16_e32 v53, v59, v65
	v_sub_f16_e32 v54, v61, v59
	v_sub_f16_e32 v59, v59, v65
	;; [unrolled: 1-line block ×4, first 2 shown]
	v_add_f16_e32 v32, v32, v33
	v_add_f16_e32 v33, v35, v37
	;; [unrolled: 1-line block ×4, first 2 shown]
	v_fma_f16 v44, -0.5, v58, v9
	v_add_f16_e32 v29, v60, v62
	v_add_f16_e32 v40, v14, v11
	;; [unrolled: 1-line block ×3, first 2 shown]
	v_sub_f16_e32 v66, v61, v63
	v_fmac_f16_e32 v9, -0.5, v69
	v_sub_f16_e32 v30, v24, v26
	v_sub_f16_e32 v31, v14, v11
	;; [unrolled: 1-line block ×6, first 2 shown]
	v_add_f16_e32 v14, v38, v14
	v_fma_f16 v38, -0.5, v48, v57
	v_add_f16_e32 v12, v15, v12
	v_fmamk_f16 v15, v59, 0x3b9c, v44
	v_sub_f16_e32 v42, v60, v62
	v_sub_f16_e32 v46, v11, v26
	v_add_f16_e32 v28, v28, v60
	v_fma_f16 v29, -0.5, v29, v36
	v_fmac_f16_e32 v36, -0.5, v34
	v_fma_f16 v34, -0.5, v40, v39
	v_fmac_f16_e32 v39, -0.5, v45
	v_add_f16_e32 v37, v47, v61
	v_fmac_f16_e32 v57, -0.5, v53
	v_fmamk_f16 v53, v66, 0xbb9c, v9
	v_fmac_f16_e32 v9, 0x3b9c, v66
	v_fmac_f16_e32 v44, 0xbb9c, v59
	v_add_f16_e32 v40, v51, v52
	v_add_f16_e32 v45, v67, v68
	;; [unrolled: 1-line block ×3, first 2 shown]
	v_fmamk_f16 v51, v49, 0xbb9c, v38
	v_fmac_f16_e32 v15, 0x38b4, v66
	v_sub_f16_e32 v55, v63, v65
	v_add_f16_e32 v24, v24, v46
	v_add_f16_e32 v25, v25, v70
	;; [unrolled: 1-line block ×3, first 2 shown]
	v_fmamk_f16 v46, v30, 0xbb9c, v29
	v_fmac_f16_e32 v29, 0x3b9c, v30
	v_fmamk_f16 v48, v42, 0xbb9c, v39
	v_fmac_f16_e32 v39, 0x3b9c, v42
	v_add_f16_e32 v37, v37, v63
	v_fmamk_f16 v52, v50, 0x3b9c, v57
	v_fmac_f16_e32 v57, 0xbb9c, v50
	v_fmac_f16_e32 v53, 0x38b4, v59
	;; [unrolled: 1-line block ×3, first 2 shown]
	v_fmamk_f16 v47, v31, 0x3b9c, v36
	v_fmac_f16_e32 v36, 0xbb9c, v31
	v_fmac_f16_e32 v38, 0x3b9c, v49
	;; [unrolled: 1-line block ×3, first 2 shown]
	v_fmamk_f16 v14, v41, 0x3b9c, v34
	v_add_f16_e32 v11, v11, v26
	v_fmac_f16_e32 v51, 0xb8b4, v50
	v_add_f16_e32 v12, v12, v27
	v_fmac_f16_e32 v15, 0x34f2, v45
	v_add_f16_e32 v43, v54, v55
	v_add_f16_e32 v28, v28, v64
	v_fmac_f16_e32 v46, 0xb8b4, v31
	v_fmac_f16_e32 v29, 0x38b4, v31
	;; [unrolled: 1-line block ×4, first 2 shown]
	v_add_f16_e32 v26, v37, v65
	v_fmac_f16_e32 v52, 0xb8b4, v49
	v_fmac_f16_e32 v57, 0x38b4, v49
	;; [unrolled: 1-line block ×11, first 2 shown]
	v_add_f16_e32 v25, v11, v12
	v_sub_f16_e32 v11, v11, v12
	v_mul_f16_e32 v12, 0xb8b4, v15
	v_mul_f16_e32 v15, 0x3a79, v15
	v_fmac_f16_e32 v46, 0x34f2, v32
	v_fmac_f16_e32 v29, 0x34f2, v32
	;; [unrolled: 1-line block ×6, first 2 shown]
	v_add_f16_e32 v24, v28, v26
	v_sub_f16_e32 v26, v28, v26
	v_mul_f16_e32 v27, 0xbb9c, v53
	v_mul_f16_e32 v28, 0xbb9c, v9
	;; [unrolled: 1-line block ×4, first 2 shown]
	v_fmac_f16_e32 v34, 0xb8b4, v42
	v_fmac_f16_e32 v47, 0x34f2, v33
	;; [unrolled: 1-line block ×4, first 2 shown]
	v_mul_f16_e32 v30, 0xb8b4, v44
	v_mul_f16_e32 v33, 0xba79, v44
	v_fmac_f16_e32 v14, 0x34f2, v35
	v_fmac_f16_e32 v12, 0x3a79, v51
	;; [unrolled: 1-line block ×10, first 2 shown]
	v_add_f16_e32 v37, v46, v12
	v_add_f16_e32 v42, v14, v15
	;; [unrolled: 1-line block ×8, first 2 shown]
	v_pack_b32_f16 v35, v24, v25
	v_pack_b32_f16 v26, v26, v11
	v_sub_f16_e32 v24, v46, v12
	v_sub_f16_e32 v11, v47, v27
	;; [unrolled: 1-line block ×8, first 2 shown]
	v_pack_b32_f16 v14, v37, v42
	v_pack_b32_f16 v15, v38, v43
	;; [unrolled: 1-line block ×8, first 2 shown]
	ds_store_2addr_b32 v16, v35, v14 offset1:3
	ds_store_2addr_b32 v16, v15, v30 offset0:6 offset1:9
	ds_store_2addr_b32 v16, v31, v26 offset0:12 offset1:15
	;; [unrolled: 1-line block ×4, first 2 shown]
	s_waitcnt lgkmcnt(0)
	s_barrier
	buffer_gl0_inv
	ds_load_2addr_b32 v[15:16], v1 offset0:90 offset1:180
	ds_load_2addr_b32 v[13:14], v13 offset0:14 offset1:104
	ds_load_b32 v26, v19
	ds_load_b32 v33, v1 offset:1800
	v_lshrrev_b32_e32 v30, 16, v23
	s_and_saveexec_b32 s2, s1
	s_cbranch_execz .LBB0_17
; %bb.16:
	v_add_nc_u32_e32 v9, 0x400, v1
	ds_load_b32 v24, v21
	ds_load_b32 v30, v1 offset:2016
	ds_load_2addr_b32 v[11:12], v1 offset0:144 offset1:234
	ds_load_2addr_b32 v[9:10], v9 offset0:68 offset1:158
	s_waitcnt lgkmcnt(3)
	v_lshrrev_b32_e32 v25, 16, v24
	s_waitcnt lgkmcnt(2)
	v_lshrrev_b32_e32 v18, 16, v30
	;; [unrolled: 2-line block ×4, first 2 shown]
	v_lshrrev_b32_e32 v23, 16, v10
	v_lshrrev_b32_e32 v29, 16, v12
.LBB0_17:
	s_or_b32 exec_lo, exec_lo, s2
	v_subrev_nc_u32_e32 v31, 30, v0
	v_cmp_gt_u32_e64 s2, 30, v0
	v_and_b32_e32 v34, 0xff, v8
	v_mov_b32_e32 v32, 0
	s_waitcnt lgkmcnt(3)
	v_lshrrev_b32_e32 v47, 16, v15
	v_lshrrev_b32_e32 v48, 16, v16
	v_cndmask_b32_e64 v42, v31, v0, s2
	v_mul_lo_u16 v36, 0x89, v34
	s_waitcnt lgkmcnt(2)
	v_lshrrev_b32_e32 v49, 16, v13
	v_lshrrev_b32_e32 v50, 16, v14
	s_waitcnt lgkmcnt(0)
	v_lshrrev_b32_e32 v51, 16, v33
	v_mul_i32_i24_e32 v31, 5, v42
	v_lshlrev_b32_e32 v42, 2, v42
	v_lshrrev_b32_e32 v46, 16, v26
	s_delay_alu instid0(VALU_DEP_3) | instskip(SKIP_1) | instid1(VALU_DEP_1)
	v_lshlrev_b64 v[34:35], 2, v[31:32]
	v_lshrrev_b16 v31, 12, v36
	v_mul_lo_u16 v32, v31, 30
	s_delay_alu instid0(VALU_DEP_3) | instskip(NEXT) | instid1(VALU_DEP_1)
	v_add_co_u32 v38, s2, s4, v34
	v_add_co_ci_u32_e64 v39, s2, s5, v35, s2
	s_delay_alu instid0(VALU_DEP_3)
	v_sub_nc_u16 v32, v8, v32
	s_clause 0x1
	global_load_b128 v[34:37], v[38:39], off offset:108
	global_load_b32 v43, v[38:39], off offset:124
	v_cmp_lt_u32_e64 s2, 29, v0
	v_and_b32_e32 v32, 0xff, v32
	s_delay_alu instid0(VALU_DEP_2) | instskip(NEXT) | instid1(VALU_DEP_2)
	v_cndmask_b32_e64 v45, 0, 0x2d0, s2
	v_mul_u32_u24_e32 v38, 5, v32
	s_delay_alu instid0(VALU_DEP_2) | instskip(NEXT) | instid1(VALU_DEP_2)
	v_add_nc_u32_e32 v45, 0, v45
	v_lshlrev_b32_e32 v44, 2, v38
	s_clause 0x1
	global_load_b128 v[38:41], v44, s[4:5] offset:108
	global_load_b32 v44, v44, s[4:5] offset:124
	v_add3_u32 v42, v45, v42, v17
	s_waitcnt vmcnt(0)
	s_barrier
	buffer_gl0_inv
	v_lshrrev_b32_e32 v45, 16, v34
	v_lshrrev_b32_e32 v52, 16, v35
	;; [unrolled: 1-line block ×5, first 2 shown]
	v_mul_f16_e32 v56, v45, v47
	v_mul_f16_e32 v45, v45, v15
	;; [unrolled: 1-line block ×10, first 2 shown]
	v_fmac_f16_e32 v56, v34, v15
	v_fma_f16 v15, v34, v47, -v45
	v_fmac_f16_e32 v57, v35, v16
	v_fmac_f16_e32 v58, v36, v13
	v_fma_f16 v13, v36, v49, -v53
	v_fmac_f16_e32 v59, v37, v14
	v_fmac_f16_e32 v60, v43, v33
	v_fma_f16 v33, v43, v51, -v55
	v_lshrrev_b32_e32 v34, 16, v38
	v_lshrrev_b32_e32 v36, 16, v40
	;; [unrolled: 1-line block ×3, first 2 shown]
	v_fma_f16 v16, v35, v48, -v52
	v_fma_f16 v14, v37, v50, -v54
	v_lshrrev_b32_e32 v35, 16, v39
	v_lshrrev_b32_e32 v37, 16, v41
	v_add_f16_e32 v45, v26, v57
	v_add_f16_e32 v47, v57, v59
	v_sub_f16_e32 v50, v57, v59
	v_sub_f16_e32 v53, v13, v33
	v_add_f16_e32 v54, v15, v13
	v_add_f16_e32 v13, v13, v33
	v_mul_f16_e32 v57, v28, v34
	v_mul_f16_e32 v34, v11, v34
	;; [unrolled: 1-line block ×6, first 2 shown]
	v_sub_f16_e32 v48, v16, v14
	v_add_f16_e32 v49, v46, v16
	v_add_f16_e32 v16, v16, v14
	;; [unrolled: 1-line block ×4, first 2 shown]
	v_sub_f16_e32 v55, v58, v60
	v_mul_f16_e32 v58, v29, v35
	v_mul_f16_e32 v35, v12, v35
	;; [unrolled: 1-line block ×4, first 2 shown]
	v_fmac_f16_e32 v15, -0.5, v13
	v_fma_f16 v28, v28, v38, -v34
	v_fmac_f16_e32 v61, v9, v40
	v_fma_f16 v9, v27, v40, -v36
	v_fma_f16 v18, v18, v44, -v43
	v_add_f16_e32 v45, v45, v59
	v_fmac_f16_e32 v26, -0.5, v47
	v_fmac_f16_e32 v46, -0.5, v16
	v_add_f16_e32 v16, v51, v60
	v_fmac_f16_e32 v56, -0.5, v52
	v_fmac_f16_e32 v57, v11, v38
	v_fmac_f16_e32 v58, v12, v39
	v_fma_f16 v11, v29, v39, -v35
	v_fmac_f16_e32 v62, v10, v41
	v_fma_f16 v10, v23, v41, -v37
	v_fmac_f16_e32 v63, v30, v44
	v_fmamk_f16 v12, v55, 0x3aee, v15
	v_sub_f16_e32 v41, v9, v18
	v_add_f16_e32 v43, v28, v9
	v_add_f16_e32 v9, v9, v18
	;; [unrolled: 1-line block ×4, first 2 shown]
	v_fmamk_f16 v29, v48, 0xbaee, v26
	v_fmac_f16_e32 v26, 0x3aee, v48
	v_fmamk_f16 v23, v53, 0xbaee, v56
	v_fmac_f16_e32 v15, 0xbaee, v55
	v_add_f16_e32 v13, v45, v16
	v_sub_f16_e32 v16, v45, v16
	v_add_f16_e32 v36, v25, v11
	v_add_f16_e32 v37, v11, v10
	;; [unrolled: 1-line block ×3, first 2 shown]
	v_sub_f16_e32 v44, v61, v63
	v_mul_f16_e32 v45, 0xbaee, v12
	v_mul_f16_e32 v48, 0.5, v12
	v_fmac_f16_e32 v28, -0.5, v9
	v_fmamk_f16 v30, v50, 0x3aee, v46
	v_fmac_f16_e32 v56, 0x3aee, v53
	v_add_f16_e32 v27, v14, v33
	v_sub_f16_e32 v14, v14, v33
	v_add_f16_e32 v33, v24, v58
	v_add_f16_e32 v34, v58, v62
	v_sub_f16_e32 v35, v11, v10
	v_sub_f16_e32 v38, v58, v62
	v_add_f16_e32 v39, v57, v61
	v_mul_f16_e32 v47, 0xbaee, v15
	v_mul_f16_e32 v49, -0.5, v15
	v_add_f16_e32 v12, v36, v10
	v_fmac_f16_e32 v25, -0.5, v37
	v_fmac_f16_e32 v57, -0.5, v40
	v_fmac_f16_e32 v45, 0.5, v23
	v_fmac_f16_e32 v48, 0x3aee, v23
	v_fmamk_f16 v10, v44, 0x3aee, v28
	v_fmac_f16_e32 v28, 0xbaee, v44
	v_fmac_f16_e32 v46, 0xbaee, v50
	v_pack_b32_f16 v50, v13, v27
	v_pack_b32_f16 v51, v16, v14
	v_add_f16_e32 v11, v33, v62
	v_fmac_f16_e32 v24, -0.5, v34
	v_add_f16_e32 v13, v39, v63
	v_add_f16_e32 v14, v43, v18
	v_fmac_f16_e32 v47, -0.5, v56
	v_fmac_f16_e32 v49, 0x3aee, v56
	v_fmamk_f16 v16, v38, 0x3aee, v25
	v_fmac_f16_e32 v25, 0xbaee, v38
	v_fmamk_f16 v9, v41, 0xbaee, v57
	v_fmac_f16_e32 v57, 0x3aee, v41
	v_add_f16_e32 v34, v29, v45
	v_add_f16_e32 v36, v30, v48
	v_sub_f16_e32 v38, v29, v45
	v_sub_f16_e32 v39, v30, v48
	v_mul_f16_e32 v18, 0xbaee, v10
	v_mul_f16_e32 v29, 0xbaee, v28
	v_mul_f16_e32 v30, 0.5, v10
	v_mul_f16_e32 v33, -0.5, v28
	v_fmamk_f16 v15, v35, 0xbaee, v24
	v_fmac_f16_e32 v24, 0x3aee, v35
	v_add_f16_e32 v35, v26, v47
	v_add_f16_e32 v37, v46, v49
	v_sub_f16_e32 v26, v26, v47
	v_sub_f16_e32 v40, v46, v49
	v_fmac_f16_e32 v18, 0.5, v9
	v_fmac_f16_e32 v29, -0.5, v57
	v_fmac_f16_e32 v30, 0x3aee, v9
	v_fmac_f16_e32 v33, 0x3aee, v57
	v_sub_f16_e32 v23, v11, v13
	v_sub_f16_e32 v27, v12, v14
	v_pack_b32_f16 v34, v34, v36
	v_pack_b32_f16 v35, v35, v37
	;; [unrolled: 1-line block ×3, first 2 shown]
	v_sub_f16_e32 v9, v15, v18
	v_sub_f16_e32 v10, v24, v29
	;; [unrolled: 1-line block ×4, first 2 shown]
	v_pack_b32_f16 v36, v38, v39
	ds_store_2addr_b32 v42, v50, v34 offset1:30
	ds_store_2addr_b32 v42, v35, v51 offset0:60 offset1:90
	ds_store_2addr_b32 v42, v36, v37 offset0:120 offset1:150
	s_and_saveexec_b32 s2, s1
	s_cbranch_execz .LBB0_19
; %bb.18:
	v_and_b32_e32 v31, 0xffff, v31
	v_add_f16_e32 v16, v16, v30
	v_add_f16_e32 v12, v12, v14
	;; [unrolled: 1-line block ×3, first 2 shown]
	v_lshlrev_b32_e32 v14, 2, v32
	v_mad_u32_u24 v13, 0x2d0, v31, 0
	v_add_f16_e32 v15, v15, v18
	v_add_f16_e32 v25, v25, v33
	;; [unrolled: 1-line block ×3, first 2 shown]
	v_pack_b32_f16 v11, v11, v12
	v_add3_u32 v12, v13, v14, v17
	v_pack_b32_f16 v13, v15, v16
	v_perm_b32 v15, v27, v23, 0x5040100
	v_pack_b32_f16 v14, v18, v25
	v_perm_b32 v16, v28, v9, 0x5040100
	v_perm_b32 v17, v26, v10, 0x5040100
	ds_store_2addr_b32 v12, v11, v13 offset1:30
	ds_store_2addr_b32 v12, v14, v15 offset0:60 offset1:90
	ds_store_2addr_b32 v12, v16, v17 offset0:120 offset1:150
.LBB0_19:
	s_or_b32 exec_lo, exec_lo, s2
	v_add_nc_u32_e32 v11, 0x400, v1
	s_waitcnt lgkmcnt(0)
	s_barrier
	buffer_gl0_inv
	ds_load_2addr_b32 v[17:18], v1 offset0:180 offset1:234
	ds_load_2addr_b32 v[13:14], v11 offset0:32 offset1:104
	;; [unrolled: 1-line block ×3, first 2 shown]
	ds_load_b32 v29, v19
	ds_load_b32 v25, v21
	;; [unrolled: 1-line block ×3, first 2 shown]
	s_and_saveexec_b32 s1, s0
	s_cbranch_execz .LBB0_21
; %bb.20:
	v_add_nc_u32_e32 v9, 0x500, v1
	ds_load_b32 v23, v22
	ds_load_2addr_b32 v[9:10], v9 offset0:22 offset1:202
	s_waitcnt lgkmcnt(1)
	v_lshrrev_b32_e32 v27, 16, v23
	s_waitcnt lgkmcnt(0)
	v_lshrrev_b32_e32 v26, 16, v10
	v_lshrrev_b32_e32 v28, 16, v9
.LBB0_21:
	s_or_b32 exec_lo, exec_lo, s1
	v_dual_mov_b32 v12, 0 :: v_dual_lshlrev_b32 v11, 1, v0
	s_waitcnt lgkmcnt(4)
	v_lshrrev_b32_e32 v41, 16, v14
	v_lshrrev_b32_e32 v42, 16, v17
	s_waitcnt lgkmcnt(3)
	v_lshrrev_b32_e32 v39, 16, v15
	v_lshrrev_b32_e32 v40, 16, v18
	v_lshlrev_b64 v[30:31], 2, v[11:12]
	v_lshlrev_b32_e32 v11, 1, v8
	v_lshrrev_b32_e32 v37, 16, v16
	v_lshrrev_b32_e32 v38, 16, v13
	s_waitcnt lgkmcnt(1)
	v_lshrrev_b32_e32 v22, 16, v25
	s_waitcnt lgkmcnt(0)
	v_lshrrev_b32_e32 v36, 16, v24
	v_lshlrev_b64 v[32:33], 2, v[11:12]
	v_lshlrev_b32_e32 v11, 1, v6
	v_add_co_u32 v30, s1, s4, v30
	s_delay_alu instid0(VALU_DEP_1) | instskip(NEXT) | instid1(VALU_DEP_3)
	v_add_co_ci_u32_e64 v31, s1, s5, v31, s1
	v_lshlrev_b64 v[34:35], 2, v[11:12]
	v_add_co_u32 v32, s1, s4, v32
	global_load_b64 v[30:31], v[30:31], off offset:708
	v_add_co_ci_u32_e64 v33, s1, s5, v33, s1
	v_add_co_u32 v34, s1, s4, v34
	s_delay_alu instid0(VALU_DEP_1)
	v_add_co_ci_u32_e64 v35, s1, s5, v35, s1
	global_load_b64 v[32:33], v[32:33], off offset:708
	v_lshrrev_b32_e32 v11, 16, v29
	global_load_b64 v[34:35], v[34:35], off offset:708
	s_waitcnt vmcnt(0)
	s_barrier
	buffer_gl0_inv
	v_lshrrev_b32_e32 v43, 16, v30
	v_lshrrev_b32_e32 v44, 16, v31
	s_delay_alu instid0(VALU_DEP_2) | instskip(SKIP_1) | instid1(VALU_DEP_3)
	v_mul_f16_e32 v45, v43, v42
	v_mul_f16_e32 v43, v43, v17
	;; [unrolled: 1-line block ×4, first 2 shown]
	v_lshrrev_b32_e32 v47, 16, v32
	v_lshrrev_b32_e32 v48, 16, v33
	v_fmac_f16_e32 v45, v30, v17
	v_fma_f16 v17, v30, v42, -v43
	v_fmac_f16_e32 v46, v31, v14
	v_fma_f16 v14, v31, v41, -v44
	v_mul_f16_e32 v30, v47, v40
	v_mul_f16_e32 v31, v47, v18
	;; [unrolled: 1-line block ×4, first 2 shown]
	v_lshrrev_b32_e32 v43, 16, v34
	v_lshrrev_b32_e32 v44, 16, v35
	v_fmac_f16_e32 v30, v32, v18
	v_fma_f16 v18, v32, v40, -v31
	v_fmac_f16_e32 v41, v33, v15
	v_fma_f16 v15, v33, v39, -v42
	v_mul_f16_e32 v31, v43, v38
	v_mul_f16_e32 v32, v43, v13
	;; [unrolled: 1-line block ×4, first 2 shown]
	v_add_f16_e32 v42, v45, v46
	v_sub_f16_e32 v43, v17, v14
	v_add_f16_e32 v44, v11, v17
	v_add_f16_e32 v17, v17, v14
	;; [unrolled: 1-line block ×3, first 2 shown]
	v_fmac_f16_e32 v31, v34, v13
	v_fma_f16 v13, v34, v38, -v32
	v_fmac_f16_e32 v33, v35, v16
	v_fma_f16 v16, v35, v37, -v39
	v_add_f16_e32 v34, v30, v41
	v_add_f16_e32 v37, v22, v18
	v_sub_f16_e32 v45, v45, v46
	v_fmac_f16_e32 v29, -0.5, v42
	v_fmac_f16_e32 v11, -0.5, v17
	v_sub_f16_e32 v35, v18, v15
	v_add_f16_e32 v18, v18, v15
	v_add_f16_e32 v32, v40, v46
	;; [unrolled: 1-line block ×3, first 2 shown]
	v_fmac_f16_e32 v25, -0.5, v34
	v_add_f16_e32 v15, v37, v15
	v_add_f16_e32 v34, v31, v33
	v_sub_f16_e32 v37, v13, v16
	v_add_f16_e32 v40, v36, v13
	v_add_f16_e32 v13, v13, v16
	v_add_f16_e32 v14, v44, v14
	v_sub_f16_e32 v30, v30, v41
	v_fmamk_f16 v38, v43, 0xbaee, v29
	v_fmamk_f16 v39, v45, 0x3aee, v11
	v_fmac_f16_e32 v22, -0.5, v18
	v_fmac_f16_e32 v29, 0x3aee, v43
	v_fmac_f16_e32 v11, 0xbaee, v45
	v_add_f16_e32 v17, v17, v41
	v_add_f16_e32 v18, v24, v31
	v_sub_f16_e32 v31, v31, v33
	v_fmac_f16_e32 v24, -0.5, v34
	v_fmac_f16_e32 v36, -0.5, v13
	v_pack_b32_f16 v14, v32, v14
	v_fmamk_f16 v32, v35, 0xbaee, v25
	v_fmac_f16_e32 v25, 0x3aee, v35
	v_fmamk_f16 v35, v30, 0x3aee, v22
	v_pack_b32_f16 v13, v38, v39
	v_fmac_f16_e32 v22, 0xbaee, v30
	v_add_f16_e32 v18, v18, v33
	v_add_f16_e32 v16, v40, v16
	v_pack_b32_f16 v11, v29, v11
	v_pack_b32_f16 v15, v17, v15
	v_fmamk_f16 v17, v37, 0xbaee, v24
	v_fmamk_f16 v29, v31, 0x3aee, v36
	v_fmac_f16_e32 v24, 0x3aee, v37
	v_fmac_f16_e32 v36, 0xbaee, v31
	ds_store_2addr_b32 v1, v14, v13 offset1:180
	v_pack_b32_f16 v13, v32, v35
	v_pack_b32_f16 v14, v25, v22
	;; [unrolled: 1-line block ×5, first 2 shown]
	ds_store_b32 v1, v11 offset:1440
	ds_store_2addr_b32 v21, v15, v13 offset1:180
	ds_store_b32 v21, v14 offset:1440
	ds_store_2addr_b32 v7, v16, v17 offset1:180
	ds_store_b32 v7, v18 offset:1440
	s_and_saveexec_b32 s1, s0
	s_cbranch_execz .LBB0_23
; %bb.22:
	v_subrev_nc_u32_e32 v7, 18, v0
	s_delay_alu instid0(VALU_DEP_1) | instskip(NEXT) | instid1(VALU_DEP_1)
	v_cndmask_b32_e64 v7, v7, v4, s0
	v_lshlrev_b32_e32 v11, 1, v7
	s_delay_alu instid0(VALU_DEP_1) | instskip(NEXT) | instid1(VALU_DEP_1)
	v_lshlrev_b64 v[11:12], 2, v[11:12]
	v_add_co_u32 v11, s0, s4, v11
	s_delay_alu instid0(VALU_DEP_1) | instskip(SKIP_4) | instid1(VALU_DEP_2)
	v_add_co_ci_u32_e64 v12, s0, s5, v12, s0
	global_load_b64 v[11:12], v[11:12], off offset:708
	s_waitcnt vmcnt(0)
	v_lshrrev_b32_e32 v7, 16, v11
	v_lshrrev_b32_e32 v13, 16, v12
	v_mul_f16_e32 v14, v9, v7
	s_delay_alu instid0(VALU_DEP_2) | instskip(SKIP_2) | instid1(VALU_DEP_4)
	v_mul_f16_e32 v15, v10, v13
	v_mul_f16_e32 v7, v28, v7
	;; [unrolled: 1-line block ×3, first 2 shown]
	v_fma_f16 v14, v28, v11, -v14
	s_delay_alu instid0(VALU_DEP_4) | instskip(NEXT) | instid1(VALU_DEP_4)
	v_fma_f16 v15, v26, v12, -v15
	v_fmac_f16_e32 v7, v9, v11
	s_delay_alu instid0(VALU_DEP_4) | instskip(NEXT) | instid1(VALU_DEP_4)
	v_fmac_f16_e32 v13, v10, v12
	v_add_f16_e32 v12, v27, v14
	s_delay_alu instid0(VALU_DEP_4) | instskip(SKIP_1) | instid1(VALU_DEP_4)
	v_add_f16_e32 v9, v14, v15
	v_sub_f16_e32 v14, v14, v15
	v_add_f16_e32 v11, v7, v13
	v_sub_f16_e32 v10, v7, v13
	v_add_f16_e32 v7, v23, v7
	v_fma_f16 v9, -0.5, v9, v27
	v_add_f16_e32 v12, v12, v15
	v_fma_f16 v11, -0.5, v11, v23
	s_delay_alu instid0(VALU_DEP_4) | instskip(NEXT) | instid1(VALU_DEP_4)
	v_add_f16_e32 v7, v7, v13
	v_fmamk_f16 v13, v10, 0xbaee, v9
	v_fmac_f16_e32 v9, 0x3aee, v10
	s_delay_alu instid0(VALU_DEP_4) | instskip(SKIP_3) | instid1(VALU_DEP_4)
	v_fmamk_f16 v10, v14, 0x3aee, v11
	v_fmac_f16_e32 v11, 0xbaee, v14
	v_add_nc_u32_e32 v14, 0x200, v1
	v_pack_b32_f16 v7, v7, v12
	v_pack_b32_f16 v10, v10, v13
	s_delay_alu instid0(VALU_DEP_4)
	v_pack_b32_f16 v9, v11, v9
	ds_store_2addr_b32 v14, v7, v9 offset0:34 offset1:214
	ds_store_b32 v1, v10 offset:2088
.LBB0_23:
	s_or_b32 exec_lo, exec_lo, s1
	s_waitcnt lgkmcnt(0)
	s_barrier
	buffer_gl0_inv
	ds_load_b32 v7, v19
	v_sub_nc_u32_e32 v12, v20, v5
	s_mov_b32 s1, exec_lo
                                        ; implicit-def: $vgpr14
                                        ; implicit-def: $vgpr13
                                        ; implicit-def: $vgpr10_vgpr11
	s_waitcnt lgkmcnt(0)
	v_lshrrev_b32_e32 v5, 16, v7
	v_cmpx_ne_u32_e32 0, v0
	s_xor_b32 s1, exec_lo, s1
	s_cbranch_execz .LBB0_25
; %bb.24:
	v_mov_b32_e32 v1, 0
	s_delay_alu instid0(VALU_DEP_1) | instskip(NEXT) | instid1(VALU_DEP_1)
	v_lshlrev_b64 v[9:10], 2, v[0:1]
	v_add_co_u32 v9, s0, s4, v9
	s_delay_alu instid0(VALU_DEP_1)
	v_add_co_ci_u32_e64 v10, s0, s5, v10, s0
	global_load_b32 v9, v[9:10], off offset:2148
	ds_load_b32 v10, v12 offset:2160
	s_waitcnt lgkmcnt(0)
	v_lshrrev_b32_e32 v11, 16, v10
	v_sub_f16_e32 v13, v7, v10
	v_add_f16_e32 v7, v10, v7
	s_delay_alu instid0(VALU_DEP_3) | instskip(SKIP_1) | instid1(VALU_DEP_4)
	v_add_f16_e32 v14, v11, v5
	v_sub_f16_e32 v5, v5, v11
	v_mul_f16_e32 v11, 0.5, v13
	s_delay_alu instid0(VALU_DEP_3) | instskip(NEXT) | instid1(VALU_DEP_3)
	v_mul_f16_e32 v14, 0.5, v14
	v_mul_f16_e32 v5, 0.5, v5
	s_waitcnt vmcnt(0)
	v_lshrrev_b32_e32 v13, 16, v9
	s_delay_alu instid0(VALU_DEP_1) | instskip(NEXT) | instid1(VALU_DEP_3)
	v_mul_f16_e32 v10, v13, v11
	v_fma_f16 v15, v14, v13, v5
	v_fma_f16 v5, v14, v13, -v5
	s_delay_alu instid0(VALU_DEP_3) | instskip(SKIP_1) | instid1(VALU_DEP_4)
	v_fma_f16 v13, 0.5, v7, v10
	v_fma_f16 v7, v7, 0.5, -v10
	v_fma_f16 v15, -v9, v11, v15
	s_delay_alu instid0(VALU_DEP_4)
	v_fma_f16 v5, -v9, v11, v5
	v_dual_mov_b32 v11, v1 :: v_dual_mov_b32 v10, v0
	v_fmac_f16_e32 v13, v9, v14
	v_fma_f16 v14, -v9, v14, v7
	ds_store_b16 v19, v15 offset:2
	ds_store_b16 v12, v5 offset:2162
                                        ; implicit-def: $vgpr5
                                        ; implicit-def: $vgpr7
.LBB0_25:
	s_and_not1_saveexec_b32 s0, s1
	s_cbranch_execz .LBB0_27
; %bb.26:
	v_dual_mov_b32 v1, 0 :: v_dual_mov_b32 v10, 0
	v_add_f16_e32 v13, v5, v7
	v_mov_b32_e32 v11, 0
	v_sub_f16_e32 v14, v7, v5
	ds_store_b16 v19, v1 offset:2
	ds_store_b16 v12, v1 offset:2162
	ds_load_u16 v1, v20 offset:1082
	s_waitcnt lgkmcnt(0)
	v_xor_b32_e32 v1, 0x8000, v1
	ds_store_b16 v20, v1 offset:1082
.LBB0_27:
	s_or_b32 exec_lo, exec_lo, s0
	v_mov_b32_e32 v9, 0
	s_delay_alu instid0(VALU_DEP_1)
	v_lshlrev_b64 v[15:16], 2, v[8:9]
	v_mov_b32_e32 v7, v9
	v_mov_b32_e32 v5, v9
	v_lshlrev_b64 v[9:10], 2, v[10:11]
	v_lshl_add_u32 v8, v8, 2, v20
	v_add_co_u32 v15, s0, s4, v15
	s_delay_alu instid0(VALU_DEP_1) | instskip(SKIP_3) | instid1(VALU_DEP_2)
	v_add_co_ci_u32_e64 v16, s0, s5, v16, s0
	global_load_b32 v1, v[15:16], off offset:2148
	v_lshlrev_b64 v[15:16], 2, v[6:7]
	v_lshl_add_u32 v6, v6, 2, v20
	v_add_co_u32 v15, s0, s4, v15
	s_delay_alu instid0(VALU_DEP_1) | instskip(SKIP_3) | instid1(VALU_DEP_2)
	v_add_co_ci_u32_e64 v16, s0, s5, v16, s0
	global_load_b32 v7, v[15:16], off offset:2148
	v_lshlrev_b64 v[15:16], 2, v[4:5]
	v_lshl_add_u32 v4, v4, 2, v20
	v_add_co_u32 v15, s0, s4, v15
	s_delay_alu instid0(VALU_DEP_1) | instskip(SKIP_4) | instid1(VALU_DEP_1)
	v_add_co_ci_u32_e64 v16, s0, s5, v16, s0
	s_add_u32 s0, s4, 0x864
	s_addc_u32 s1, s5, 0
	global_load_b32 v5, v[15:16], off offset:2148
	v_add_co_u32 v15, s0, s0, v9
	v_add_co_ci_u32_e64 v16, s0, s1, v10, s0
	global_load_b32 v11, v[15:16], off offset:864
	ds_store_b16 v19, v13
	ds_store_b16 v12, v14 offset:2160
	ds_load_b32 v13, v8
	ds_load_b32 v14, v12 offset:1944
	s_waitcnt lgkmcnt(0)
	v_pk_add_f16 v15, v13, v14 neg_lo:[0,1] neg_hi:[0,1]
	v_pk_add_f16 v13, v13, v14
	s_delay_alu instid0(VALU_DEP_1) | instskip(SKIP_1) | instid1(VALU_DEP_2)
	v_bfi_b32 v14, 0xffff, v15, v13
	v_bfi_b32 v13, 0xffff, v13, v15
	v_pk_mul_f16 v14, v14, 0.5 op_sel_hi:[1,0]
	s_delay_alu instid0(VALU_DEP_2) | instskip(SKIP_1) | instid1(VALU_DEP_1)
	v_pk_mul_f16 v13, v13, 0.5 op_sel_hi:[1,0]
	s_waitcnt vmcnt(3)
	v_pk_fma_f16 v15, v1, v14, v13 op_sel:[1,0,0]
	v_pk_mul_f16 v16, v1, v14 op_sel_hi:[0,1]
	v_pk_fma_f16 v17, v1, v14, v13 op_sel:[1,0,0] neg_lo:[1,0,0] neg_hi:[1,0,0]
	v_pk_fma_f16 v1, v1, v14, v13 op_sel:[1,0,0] neg_lo:[0,0,1] neg_hi:[0,0,1]
	s_delay_alu instid0(VALU_DEP_3) | instskip(SKIP_1) | instid1(VALU_DEP_4)
	v_pk_add_f16 v13, v15, v16 op_sel:[0,1] op_sel_hi:[1,0]
	v_pk_add_f16 v14, v15, v16 op_sel:[0,1] op_sel_hi:[1,0] neg_lo:[0,1] neg_hi:[0,1]
	v_pk_add_f16 v15, v17, v16 op_sel:[0,1] op_sel_hi:[1,0] neg_lo:[0,1] neg_hi:[0,1]
	s_delay_alu instid0(VALU_DEP_4) | instskip(NEXT) | instid1(VALU_DEP_3)
	v_pk_add_f16 v1, v1, v16 op_sel:[0,1] op_sel_hi:[1,0] neg_lo:[0,1] neg_hi:[0,1]
	v_bfi_b32 v13, 0xffff, v13, v14
	s_delay_alu instid0(VALU_DEP_2)
	v_bfi_b32 v1, 0xffff, v15, v1
	ds_store_b32 v8, v13
	ds_store_b32 v12, v1 offset:1944
	ds_load_b32 v1, v6
	ds_load_b32 v8, v12 offset:1728
	s_waitcnt lgkmcnt(0)
	v_pk_add_f16 v13, v1, v8 neg_lo:[0,1] neg_hi:[0,1]
	v_pk_add_f16 v1, v1, v8
	s_delay_alu instid0(VALU_DEP_1) | instskip(SKIP_1) | instid1(VALU_DEP_2)
	v_bfi_b32 v8, 0xffff, v13, v1
	v_bfi_b32 v1, 0xffff, v1, v13
	v_pk_mul_f16 v8, v8, 0.5 op_sel_hi:[1,0]
	s_delay_alu instid0(VALU_DEP_2) | instskip(SKIP_1) | instid1(VALU_DEP_2)
	v_pk_mul_f16 v1, v1, 0.5 op_sel_hi:[1,0]
	s_waitcnt vmcnt(2)
	v_pk_mul_f16 v14, v7, v8 op_sel_hi:[0,1]
	s_delay_alu instid0(VALU_DEP_2) | instskip(SKIP_2) | instid1(VALU_DEP_3)
	v_pk_fma_f16 v13, v7, v8, v1 op_sel:[1,0,0]
	v_pk_fma_f16 v15, v7, v8, v1 op_sel:[1,0,0] neg_lo:[1,0,0] neg_hi:[1,0,0]
	v_pk_fma_f16 v1, v7, v8, v1 op_sel:[1,0,0] neg_lo:[0,0,1] neg_hi:[0,0,1]
	v_pk_add_f16 v7, v13, v14 op_sel:[0,1] op_sel_hi:[1,0]
	v_pk_add_f16 v8, v13, v14 op_sel:[0,1] op_sel_hi:[1,0] neg_lo:[0,1] neg_hi:[0,1]
	s_delay_alu instid0(VALU_DEP_4) | instskip(NEXT) | instid1(VALU_DEP_4)
	v_pk_add_f16 v13, v15, v14 op_sel:[0,1] op_sel_hi:[1,0] neg_lo:[0,1] neg_hi:[0,1]
	v_pk_add_f16 v1, v1, v14 op_sel:[0,1] op_sel_hi:[1,0] neg_lo:[0,1] neg_hi:[0,1]
	s_delay_alu instid0(VALU_DEP_3) | instskip(NEXT) | instid1(VALU_DEP_2)
	v_bfi_b32 v7, 0xffff, v7, v8
	v_bfi_b32 v1, 0xffff, v13, v1
	ds_store_b32 v6, v7
	ds_store_b32 v12, v1 offset:1728
	ds_load_b32 v1, v4
	ds_load_b32 v6, v12 offset:1512
	s_waitcnt lgkmcnt(0)
	v_pk_add_f16 v7, v1, v6 neg_lo:[0,1] neg_hi:[0,1]
	v_pk_add_f16 v1, v1, v6
	s_delay_alu instid0(VALU_DEP_1) | instskip(SKIP_1) | instid1(VALU_DEP_2)
	v_bfi_b32 v6, 0xffff, v7, v1
	v_bfi_b32 v1, 0xffff, v1, v7
	v_pk_mul_f16 v6, v6, 0.5 op_sel_hi:[1,0]
	s_delay_alu instid0(VALU_DEP_2) | instskip(SKIP_1) | instid1(VALU_DEP_2)
	v_pk_mul_f16 v1, v1, 0.5 op_sel_hi:[1,0]
	s_waitcnt vmcnt(1)
	v_pk_mul_f16 v8, v5, v6 op_sel_hi:[0,1]
	s_delay_alu instid0(VALU_DEP_2) | instskip(SKIP_2) | instid1(VALU_DEP_3)
	v_pk_fma_f16 v7, v5, v6, v1 op_sel:[1,0,0]
	v_pk_fma_f16 v13, v5, v6, v1 op_sel:[1,0,0] neg_lo:[1,0,0] neg_hi:[1,0,0]
	v_pk_fma_f16 v1, v5, v6, v1 op_sel:[1,0,0] neg_lo:[0,0,1] neg_hi:[0,0,1]
	v_pk_add_f16 v5, v7, v8 op_sel:[0,1] op_sel_hi:[1,0]
	v_pk_add_f16 v6, v7, v8 op_sel:[0,1] op_sel_hi:[1,0] neg_lo:[0,1] neg_hi:[0,1]
	s_delay_alu instid0(VALU_DEP_4) | instskip(NEXT) | instid1(VALU_DEP_4)
	v_pk_add_f16 v7, v13, v8 op_sel:[0,1] op_sel_hi:[1,0] neg_lo:[0,1] neg_hi:[0,1]
	v_pk_add_f16 v1, v1, v8 op_sel:[0,1] op_sel_hi:[1,0] neg_lo:[0,1] neg_hi:[0,1]
	s_delay_alu instid0(VALU_DEP_3) | instskip(NEXT) | instid1(VALU_DEP_2)
	v_bfi_b32 v5, 0xffff, v5, v6
	v_bfi_b32 v1, 0xffff, v7, v1
	ds_store_b32 v4, v5
	ds_store_b32 v12, v1 offset:1512
	ds_load_b32 v1, v19 offset:864
	ds_load_b32 v4, v12 offset:1296
	s_waitcnt lgkmcnt(0)
	v_pk_add_f16 v5, v1, v4 neg_lo:[0,1] neg_hi:[0,1]
	v_pk_add_f16 v1, v1, v4
	s_delay_alu instid0(VALU_DEP_1) | instskip(SKIP_1) | instid1(VALU_DEP_2)
	v_bfi_b32 v4, 0xffff, v5, v1
	v_bfi_b32 v1, 0xffff, v1, v5
	v_pk_mul_f16 v4, v4, 0.5 op_sel_hi:[1,0]
	s_delay_alu instid0(VALU_DEP_2) | instskip(SKIP_1) | instid1(VALU_DEP_2)
	v_pk_mul_f16 v1, v1, 0.5 op_sel_hi:[1,0]
	s_waitcnt vmcnt(0)
	v_pk_mul_f16 v6, v11, v4 op_sel_hi:[0,1]
	s_delay_alu instid0(VALU_DEP_2) | instskip(SKIP_2) | instid1(VALU_DEP_3)
	v_pk_fma_f16 v5, v11, v4, v1 op_sel:[1,0,0]
	v_pk_fma_f16 v7, v11, v4, v1 op_sel:[1,0,0] neg_lo:[1,0,0] neg_hi:[1,0,0]
	v_pk_fma_f16 v1, v11, v4, v1 op_sel:[1,0,0] neg_lo:[0,0,1] neg_hi:[0,0,1]
	v_pk_add_f16 v4, v5, v6 op_sel:[0,1] op_sel_hi:[1,0]
	v_pk_add_f16 v5, v5, v6 op_sel:[0,1] op_sel_hi:[1,0] neg_lo:[0,1] neg_hi:[0,1]
	s_delay_alu instid0(VALU_DEP_4) | instskip(NEXT) | instid1(VALU_DEP_4)
	v_pk_add_f16 v7, v7, v6 op_sel:[0,1] op_sel_hi:[1,0] neg_lo:[0,1] neg_hi:[0,1]
	v_pk_add_f16 v1, v1, v6 op_sel:[0,1] op_sel_hi:[1,0] neg_lo:[0,1] neg_hi:[0,1]
	s_delay_alu instid0(VALU_DEP_3) | instskip(NEXT) | instid1(VALU_DEP_2)
	v_bfi_b32 v4, 0xffff, v4, v5
	v_bfi_b32 v1, 0xffff, v7, v1
	ds_store_b32 v19, v4 offset:864
	ds_store_b32 v12, v1 offset:1296
	s_waitcnt lgkmcnt(0)
	s_barrier
	buffer_gl0_inv
	s_and_saveexec_b32 s0, vcc_lo
	s_cbranch_execz .LBB0_30
; %bb.28:
	v_add_nc_u32_e32 v1, 0x200, v19
	v_add_nc_u32_e32 v8, 0x400, v19
	ds_load_2addr_b32 v[4:5], v19 offset1:54
	ds_load_2addr_b32 v[6:7], v19 offset0:108 offset1:162
	ds_load_2addr_b32 v[11:12], v1 offset0:88 offset1:142
	;; [unrolled: 1-line block ×4, first 2 shown]
	v_add_co_u32 v1, vcc_lo, s8, v2
	v_add_co_ci_u32_e32 v2, vcc_lo, s9, v3, vcc_lo
	s_delay_alu instid0(VALU_DEP_2) | instskip(NEXT) | instid1(VALU_DEP_2)
	v_add_co_u32 v8, vcc_lo, v1, v9
	v_add_co_ci_u32_e32 v9, vcc_lo, v2, v10, vcc_lo
	v_cmp_eq_u32_e32 vcc_lo, 53, v0
	s_waitcnt lgkmcnt(4)
	s_clause 0x1
	global_store_b32 v[8:9], v4, off
	global_store_b32 v[8:9], v5, off offset:216
	s_waitcnt lgkmcnt(3)
	s_clause 0x1
	global_store_b32 v[8:9], v6, off offset:432
	global_store_b32 v[8:9], v7, off offset:648
	s_waitcnt lgkmcnt(2)
	s_clause 0x1
	global_store_b32 v[8:9], v11, off offset:864
	;; [unrolled: 4-line block ×4, first 2 shown]
	global_store_b32 v[8:9], v16, off offset:1944
	s_and_b32 exec_lo, exec_lo, vcc_lo
	s_cbranch_execz .LBB0_30
; %bb.29:
	ds_load_b32 v0, v19 offset:1948
	s_waitcnt lgkmcnt(0)
	global_store_b32 v[1:2], v0, off offset:2160
.LBB0_30:
	s_nop 0
	s_sendmsg sendmsg(MSG_DEALLOC_VGPRS)
	s_endpgm
	.section	.rodata,"a",@progbits
	.p2align	6, 0x0
	.amdhsa_kernel fft_rtc_back_len540_factors_3_10_6_3_wgs_216_tpt_54_halfLds_half_ip_CI_unitstride_sbrr_R2C_dirReg
		.amdhsa_group_segment_fixed_size 0
		.amdhsa_private_segment_fixed_size 0
		.amdhsa_kernarg_size 88
		.amdhsa_user_sgpr_count 15
		.amdhsa_user_sgpr_dispatch_ptr 0
		.amdhsa_user_sgpr_queue_ptr 0
		.amdhsa_user_sgpr_kernarg_segment_ptr 1
		.amdhsa_user_sgpr_dispatch_id 0
		.amdhsa_user_sgpr_private_segment_size 0
		.amdhsa_wavefront_size32 1
		.amdhsa_uses_dynamic_stack 0
		.amdhsa_enable_private_segment 0
		.amdhsa_system_sgpr_workgroup_id_x 1
		.amdhsa_system_sgpr_workgroup_id_y 0
		.amdhsa_system_sgpr_workgroup_id_z 0
		.amdhsa_system_sgpr_workgroup_info 0
		.amdhsa_system_vgpr_workitem_id 0
		.amdhsa_next_free_vgpr 71
		.amdhsa_next_free_sgpr 21
		.amdhsa_reserve_vcc 1
		.amdhsa_float_round_mode_32 0
		.amdhsa_float_round_mode_16_64 0
		.amdhsa_float_denorm_mode_32 3
		.amdhsa_float_denorm_mode_16_64 3
		.amdhsa_dx10_clamp 1
		.amdhsa_ieee_mode 1
		.amdhsa_fp16_overflow 0
		.amdhsa_workgroup_processor_mode 1
		.amdhsa_memory_ordered 1
		.amdhsa_forward_progress 0
		.amdhsa_shared_vgpr_count 0
		.amdhsa_exception_fp_ieee_invalid_op 0
		.amdhsa_exception_fp_denorm_src 0
		.amdhsa_exception_fp_ieee_div_zero 0
		.amdhsa_exception_fp_ieee_overflow 0
		.amdhsa_exception_fp_ieee_underflow 0
		.amdhsa_exception_fp_ieee_inexact 0
		.amdhsa_exception_int_div_zero 0
	.end_amdhsa_kernel
	.text
.Lfunc_end0:
	.size	fft_rtc_back_len540_factors_3_10_6_3_wgs_216_tpt_54_halfLds_half_ip_CI_unitstride_sbrr_R2C_dirReg, .Lfunc_end0-fft_rtc_back_len540_factors_3_10_6_3_wgs_216_tpt_54_halfLds_half_ip_CI_unitstride_sbrr_R2C_dirReg
                                        ; -- End function
	.section	.AMDGPU.csdata,"",@progbits
; Kernel info:
; codeLenInByte = 7824
; NumSgprs: 23
; NumVgprs: 71
; ScratchSize: 0
; MemoryBound: 0
; FloatMode: 240
; IeeeMode: 1
; LDSByteSize: 0 bytes/workgroup (compile time only)
; SGPRBlocks: 2
; VGPRBlocks: 8
; NumSGPRsForWavesPerEU: 23
; NumVGPRsForWavesPerEU: 71
; Occupancy: 16
; WaveLimiterHint : 1
; COMPUTE_PGM_RSRC2:SCRATCH_EN: 0
; COMPUTE_PGM_RSRC2:USER_SGPR: 15
; COMPUTE_PGM_RSRC2:TRAP_HANDLER: 0
; COMPUTE_PGM_RSRC2:TGID_X_EN: 1
; COMPUTE_PGM_RSRC2:TGID_Y_EN: 0
; COMPUTE_PGM_RSRC2:TGID_Z_EN: 0
; COMPUTE_PGM_RSRC2:TIDIG_COMP_CNT: 0
	.text
	.p2alignl 7, 3214868480
	.fill 96, 4, 3214868480
	.type	__hip_cuid_f0057906b55a99ca,@object ; @__hip_cuid_f0057906b55a99ca
	.section	.bss,"aw",@nobits
	.globl	__hip_cuid_f0057906b55a99ca
__hip_cuid_f0057906b55a99ca:
	.byte	0                               ; 0x0
	.size	__hip_cuid_f0057906b55a99ca, 1

	.ident	"AMD clang version 19.0.0git (https://github.com/RadeonOpenCompute/llvm-project roc-6.4.0 25133 c7fe45cf4b819c5991fe208aaa96edf142730f1d)"
	.section	".note.GNU-stack","",@progbits
	.addrsig
	.addrsig_sym __hip_cuid_f0057906b55a99ca
	.amdgpu_metadata
---
amdhsa.kernels:
  - .args:
      - .actual_access:  read_only
        .address_space:  global
        .offset:         0
        .size:           8
        .value_kind:     global_buffer
      - .offset:         8
        .size:           8
        .value_kind:     by_value
      - .actual_access:  read_only
        .address_space:  global
        .offset:         16
        .size:           8
        .value_kind:     global_buffer
      - .actual_access:  read_only
        .address_space:  global
        .offset:         24
        .size:           8
        .value_kind:     global_buffer
      - .offset:         32
        .size:           8
        .value_kind:     by_value
      - .actual_access:  read_only
        .address_space:  global
        .offset:         40
        .size:           8
        .value_kind:     global_buffer
      - .actual_access:  read_only
        .address_space:  global
        .offset:         48
        .size:           8
        .value_kind:     global_buffer
      - .offset:         56
        .size:           4
        .value_kind:     by_value
      - .actual_access:  read_only
        .address_space:  global
        .offset:         64
        .size:           8
        .value_kind:     global_buffer
      - .actual_access:  read_only
        .address_space:  global
        .offset:         72
        .size:           8
        .value_kind:     global_buffer
      - .address_space:  global
        .offset:         80
        .size:           8
        .value_kind:     global_buffer
    .group_segment_fixed_size: 0
    .kernarg_segment_align: 8
    .kernarg_segment_size: 88
    .language:       OpenCL C
    .language_version:
      - 2
      - 0
    .max_flat_workgroup_size: 216
    .name:           fft_rtc_back_len540_factors_3_10_6_3_wgs_216_tpt_54_halfLds_half_ip_CI_unitstride_sbrr_R2C_dirReg
    .private_segment_fixed_size: 0
    .sgpr_count:     23
    .sgpr_spill_count: 0
    .symbol:         fft_rtc_back_len540_factors_3_10_6_3_wgs_216_tpt_54_halfLds_half_ip_CI_unitstride_sbrr_R2C_dirReg.kd
    .uniform_work_group_size: 1
    .uses_dynamic_stack: false
    .vgpr_count:     71
    .vgpr_spill_count: 0
    .wavefront_size: 32
    .workgroup_processor_mode: 1
amdhsa.target:   amdgcn-amd-amdhsa--gfx1100
amdhsa.version:
  - 1
  - 2
...

	.end_amdgpu_metadata
